;; amdgpu-corpus repo=ROCm/rocFFT kind=compiled arch=gfx1030 opt=O3
	.text
	.amdgcn_target "amdgcn-amd-amdhsa--gfx1030"
	.amdhsa_code_object_version 6
	.protected	fft_rtc_back_len224_factors_8_7_4_wgs_504_tpt_56_dp_ip_CI_sbcc_twdbase8_3step ; -- Begin function fft_rtc_back_len224_factors_8_7_4_wgs_504_tpt_56_dp_ip_CI_sbcc_twdbase8_3step
	.globl	fft_rtc_back_len224_factors_8_7_4_wgs_504_tpt_56_dp_ip_CI_sbcc_twdbase8_3step
	.p2align	8
	.type	fft_rtc_back_len224_factors_8_7_4_wgs_504_tpt_56_dp_ip_CI_sbcc_twdbase8_3step,@function
fft_rtc_back_len224_factors_8_7_4_wgs_504_tpt_56_dp_ip_CI_sbcc_twdbase8_3step: ; @fft_rtc_back_len224_factors_8_7_4_wgs_504_tpt_56_dp_ip_CI_sbcc_twdbase8_3step
; %bb.0:
	s_load_dwordx4 s[12:15], s[4:5], 0x18
	s_mov_b64 s[22:23], 0
	s_waitcnt lgkmcnt(0)
	s_load_dwordx2 s[18:19], s[12:13], 0x8
	s_waitcnt lgkmcnt(0)
	s_add_u32 s0, s18, -1
	s_addc_u32 s1, s19, -1
	s_add_u32 s2, 0, 0x71c4fc00
	s_addc_u32 s3, 0, 0x7c
	s_mul_hi_u32 s8, s2, -9
	s_add_i32 s3, s3, 0x1c71c6a0
	s_sub_i32 s8, s8, s2
	s_mul_i32 s10, s3, -9
	s_mul_i32 s7, s2, -9
	s_add_i32 s8, s8, s10
	s_mul_hi_u32 s9, s2, s7
	s_mul_i32 s16, s2, s8
	s_mul_hi_u32 s10, s2, s8
	s_mul_hi_u32 s11, s3, s7
	s_mul_i32 s7, s3, s7
	s_add_u32 s9, s9, s16
	s_addc_u32 s10, 0, s10
	s_mul_hi_u32 s17, s3, s8
	s_add_u32 s7, s9, s7
	s_mul_i32 s8, s3, s8
	s_addc_u32 s7, s10, s11
	s_addc_u32 s9, s17, 0
	s_add_u32 s7, s7, s8
	v_add_co_u32 v1, s2, s2, s7
	s_addc_u32 s7, 0, s9
	s_cmp_lg_u32 s2, 0
	s_addc_u32 s2, s3, s7
	v_readfirstlane_b32 s3, v1
	s_mul_i32 s8, s0, s2
	s_mul_hi_u32 s7, s0, s2
	s_mul_hi_u32 s9, s1, s2
	s_mul_i32 s2, s1, s2
	s_mul_hi_u32 s10, s0, s3
	s_mul_hi_u32 s11, s1, s3
	s_mul_i32 s3, s1, s3
	s_add_u32 s8, s10, s8
	s_addc_u32 s7, 0, s7
	s_add_u32 s3, s8, s3
	s_addc_u32 s3, s7, s11
	s_addc_u32 s7, s9, 0
	s_add_u32 s2, s3, s2
	s_addc_u32 s3, 0, s7
	s_mul_i32 s8, s2, 9
	s_add_u32 s7, s2, 1
	v_sub_co_u32 v1, s0, s0, s8
	s_mul_hi_u32 s8, s2, 9
	s_addc_u32 s9, s3, 0
	s_mul_i32 s10, s3, 9
	v_sub_co_u32 v2, s11, v1, 9
	s_add_u32 s16, s2, 2
	s_addc_u32 s17, s3, 0
	s_add_i32 s8, s8, s10
	s_cmp_lg_u32 s0, 0
	v_readfirstlane_b32 s0, v2
	s_subb_u32 s1, s1, s8
	s_cmp_lg_u32 s11, 0
	s_subb_u32 s8, s1, 0
	s_cmp_gt_u32 s0, 8
	s_cselect_b32 s0, -1, 0
	s_cmp_eq_u32 s8, 0
	v_readfirstlane_b32 s8, v1
	s_cselect_b32 s0, s0, -1
	s_cmp_lg_u32 s0, 0
	s_cselect_b32 s0, s16, s7
	s_cselect_b32 s9, s17, s9
	s_cmp_gt_u32 s8, 8
	s_cselect_b32 s7, -1, 0
	s_cmp_eq_u32 s1, 0
	s_cselect_b32 s1, s7, -1
	s_mov_b32 s7, 0
	s_cmp_lg_u32 s1, 0
	s_cselect_b32 s0, s0, s2
	s_cselect_b32 s1, s9, s3
	s_add_u32 s20, s0, 1
	s_addc_u32 s21, s1, 0
	v_cmp_lt_u64_e64 s0, s[6:7], s[20:21]
	s_and_b32 vcc_lo, exec_lo, s0
	s_cbranch_vccnz .LBB0_2
; %bb.1:
	v_cvt_f32_u32_e32 v1, s20
	s_sub_i32 s1, 0, s20
	s_mov_b32 s23, s7
	v_rcp_iflag_f32_e32 v1, v1
	v_mul_f32_e32 v1, 0x4f7ffffe, v1
	v_cvt_u32_f32_e32 v1, v1
	v_readfirstlane_b32 s0, v1
	s_mul_i32 s1, s1, s0
	s_mul_hi_u32 s1, s0, s1
	s_add_i32 s0, s0, s1
	s_mul_hi_u32 s0, s6, s0
	s_mul_i32 s1, s0, s20
	s_add_i32 s2, s0, 1
	s_sub_i32 s1, s6, s1
	s_sub_i32 s3, s1, s20
	s_cmp_ge_u32 s1, s20
	s_cselect_b32 s0, s2, s0
	s_cselect_b32 s1, s3, s1
	s_add_i32 s2, s0, 1
	s_cmp_ge_u32 s1, s20
	s_cselect_b32 s22, s2, s0
.LBB0_2:
	s_load_dwordx4 s[0:3], s[14:15], 0x0
	s_clause 0x2
	s_load_dwordx4 s[8:11], s[4:5], 0x8
	s_load_dwordx2 s[16:17], s[4:5], 0x0
	s_load_dwordx2 s[4:5], s[4:5], 0x58
	s_mul_i32 s24, s22, s21
	s_mul_hi_u32 s25, s22, s20
	s_mul_i32 s26, s22, s20
	s_add_i32 s25, s25, s24
	s_sub_u32 s36, s6, s26
	s_subb_u32 s24, 0, s25
	s_mul_hi_u32 s33, s36, 9
	s_mul_i32 s24, s24, 9
	s_mul_i32 s36, s36, 9
	s_add_i32 s33, s33, s24
	s_waitcnt lgkmcnt(0)
	s_mul_i32 s24, s2, s33
	v_cmp_lt_u64_e64 s26, s[10:11], 3
	s_mul_hi_u32 s25, s2, s36
	s_mul_i32 s38, s2, s36
	s_add_i32 s24, s25, s24
	s_mul_i32 s25, s3, s36
	s_add_i32 s37, s24, s25
	s_and_b32 vcc_lo, exec_lo, s26
	s_cbranch_vccnz .LBB0_12
; %bb.3:
	s_add_u32 s24, s14, 16
	s_addc_u32 s25, s15, 0
	s_add_u32 s12, s12, 16
	s_addc_u32 s13, s13, 0
	s_mov_b64 s[26:27], 2
	s_mov_b32 s28, 0
.LBB0_4:                                ; =>This Inner Loop Header: Depth=1
	s_load_dwordx2 s[30:31], s[12:13], 0x0
	s_waitcnt lgkmcnt(0)
	s_or_b64 s[34:35], s[22:23], s[30:31]
	s_mov_b32 s29, s35
                                        ; implicit-def: $sgpr34_sgpr35
	s_cmp_lg_u64 s[28:29], 0
	s_mov_b32 s29, -1
	s_cbranch_scc0 .LBB0_6
; %bb.5:                                ;   in Loop: Header=BB0_4 Depth=1
	v_cvt_f32_u32_e32 v1, s30
	v_cvt_f32_u32_e32 v2, s31
	s_sub_u32 s35, 0, s30
	s_subb_u32 s39, 0, s31
	v_fmac_f32_e32 v1, 0x4f800000, v2
	v_rcp_f32_e32 v1, v1
	v_mul_f32_e32 v1, 0x5f7ffffc, v1
	v_mul_f32_e32 v2, 0x2f800000, v1
	v_trunc_f32_e32 v2, v2
	v_fmac_f32_e32 v1, 0xcf800000, v2
	v_cvt_u32_f32_e32 v2, v2
	v_cvt_u32_f32_e32 v1, v1
	v_readfirstlane_b32 s29, v2
	v_readfirstlane_b32 s34, v1
	s_mul_i32 s40, s35, s29
	s_mul_hi_u32 s42, s35, s34
	s_mul_i32 s41, s39, s34
	s_add_i32 s40, s42, s40
	s_mul_i32 s43, s35, s34
	s_add_i32 s40, s40, s41
	s_mul_hi_u32 s42, s34, s43
	s_mul_hi_u32 s44, s29, s43
	s_mul_i32 s41, s29, s43
	s_mul_hi_u32 s43, s34, s40
	s_mul_i32 s34, s34, s40
	s_mul_hi_u32 s45, s29, s40
	s_add_u32 s34, s42, s34
	s_addc_u32 s42, 0, s43
	s_add_u32 s34, s34, s41
	s_mul_i32 s40, s29, s40
	s_addc_u32 s34, s42, s44
	s_addc_u32 s41, s45, 0
	s_add_u32 s34, s34, s40
	s_addc_u32 s40, 0, s41
	v_add_co_u32 v1, s34, v1, s34
	s_cmp_lg_u32 s34, 0
	s_addc_u32 s29, s29, s40
	v_readfirstlane_b32 s34, v1
	s_mul_i32 s40, s35, s29
	s_mul_hi_u32 s41, s35, s34
	s_mul_i32 s39, s39, s34
	s_add_i32 s40, s41, s40
	s_mul_i32 s35, s35, s34
	s_add_i32 s40, s40, s39
	s_mul_hi_u32 s41, s29, s35
	s_mul_i32 s42, s29, s35
	s_mul_hi_u32 s35, s34, s35
	s_mul_hi_u32 s43, s34, s40
	s_mul_i32 s34, s34, s40
	s_mul_hi_u32 s39, s29, s40
	s_add_u32 s34, s35, s34
	s_addc_u32 s35, 0, s43
	s_add_u32 s34, s34, s42
	s_mul_i32 s40, s29, s40
	s_addc_u32 s34, s35, s41
	s_addc_u32 s35, s39, 0
	s_add_u32 s34, s34, s40
	s_addc_u32 s35, 0, s35
	v_add_co_u32 v1, s34, v1, s34
	s_cmp_lg_u32 s34, 0
	s_addc_u32 s29, s29, s35
	v_readfirstlane_b32 s34, v1
	s_mul_i32 s39, s22, s29
	s_mul_hi_u32 s35, s22, s29
	s_mul_hi_u32 s40, s23, s29
	s_mul_i32 s29, s23, s29
	s_mul_hi_u32 s41, s22, s34
	s_mul_hi_u32 s42, s23, s34
	s_mul_i32 s34, s23, s34
	s_add_u32 s39, s41, s39
	s_addc_u32 s35, 0, s35
	s_add_u32 s34, s39, s34
	s_addc_u32 s34, s35, s42
	s_addc_u32 s35, s40, 0
	s_add_u32 s34, s34, s29
	s_addc_u32 s35, 0, s35
	s_mul_hi_u32 s29, s30, s34
	s_mul_i32 s40, s30, s35
	s_mul_i32 s41, s30, s34
	s_add_i32 s29, s29, s40
	v_sub_co_u32 v1, s40, s22, s41
	s_mul_i32 s39, s31, s34
	s_add_i32 s29, s29, s39
	v_sub_co_u32 v2, s41, v1, s30
	s_sub_i32 s39, s23, s29
	s_cmp_lg_u32 s40, 0
	s_subb_u32 s39, s39, s31
	s_cmp_lg_u32 s41, 0
	v_readfirstlane_b32 s41, v2
	s_subb_u32 s39, s39, 0
	s_cmp_ge_u32 s39, s31
	s_cselect_b32 s42, -1, 0
	s_cmp_ge_u32 s41, s30
	s_cselect_b32 s41, -1, 0
	s_cmp_eq_u32 s39, s31
	s_cselect_b32 s39, s41, s42
	s_add_u32 s41, s34, 1
	s_addc_u32 s42, s35, 0
	s_add_u32 s43, s34, 2
	s_addc_u32 s44, s35, 0
	s_cmp_lg_u32 s39, 0
	s_cselect_b32 s39, s43, s41
	s_cselect_b32 s41, s44, s42
	s_cmp_lg_u32 s40, 0
	v_readfirstlane_b32 s40, v1
	s_subb_u32 s29, s23, s29
	s_cmp_ge_u32 s29, s31
	s_cselect_b32 s42, -1, 0
	s_cmp_ge_u32 s40, s30
	s_cselect_b32 s40, -1, 0
	s_cmp_eq_u32 s29, s31
	s_cselect_b32 s29, s40, s42
	s_cmp_lg_u32 s29, 0
	s_mov_b32 s29, 0
	s_cselect_b32 s35, s41, s35
	s_cselect_b32 s34, s39, s34
.LBB0_6:                                ;   in Loop: Header=BB0_4 Depth=1
	s_andn2_b32 vcc_lo, exec_lo, s29
	s_cbranch_vccnz .LBB0_8
; %bb.7:                                ;   in Loop: Header=BB0_4 Depth=1
	v_cvt_f32_u32_e32 v1, s30
	s_sub_i32 s34, 0, s30
	v_rcp_iflag_f32_e32 v1, v1
	v_mul_f32_e32 v1, 0x4f7ffffe, v1
	v_cvt_u32_f32_e32 v1, v1
	v_readfirstlane_b32 s29, v1
	s_mul_i32 s34, s34, s29
	s_mul_hi_u32 s34, s29, s34
	s_add_i32 s29, s29, s34
	s_mul_hi_u32 s29, s22, s29
	s_mul_i32 s34, s29, s30
	s_add_i32 s35, s29, 1
	s_sub_i32 s34, s22, s34
	s_sub_i32 s39, s34, s30
	s_cmp_ge_u32 s34, s30
	s_cselect_b32 s29, s35, s29
	s_cselect_b32 s34, s39, s34
	s_add_i32 s35, s29, 1
	s_cmp_ge_u32 s34, s30
	s_cselect_b32 s34, s35, s29
	s_mov_b32 s35, s28
.LBB0_8:                                ;   in Loop: Header=BB0_4 Depth=1
	s_load_dwordx2 s[40:41], s[24:25], 0x0
	s_mul_i32 s21, s30, s21
	s_mul_hi_u32 s29, s30, s20
	s_mul_i32 s39, s31, s20
	s_mul_i32 s31, s34, s31
	s_mul_hi_u32 s42, s34, s30
	s_mul_i32 s43, s35, s30
	s_add_i32 s21, s29, s21
	s_add_i32 s29, s42, s31
	s_mul_i32 s44, s34, s30
	s_add_i32 s21, s21, s39
	s_add_i32 s29, s29, s43
	s_sub_u32 s22, s22, s44
	s_subb_u32 s23, s23, s29
	s_mul_i32 s20, s30, s20
	s_waitcnt lgkmcnt(0)
	s_mul_i32 s23, s40, s23
	s_mul_hi_u32 s29, s40, s22
	s_add_i32 s23, s29, s23
	s_mul_i32 s29, s41, s22
	s_mul_i32 s22, s40, s22
	s_add_i32 s23, s23, s29
	s_add_u32 s38, s22, s38
	s_addc_u32 s37, s23, s37
	s_add_u32 s26, s26, 1
	s_addc_u32 s27, s27, 0
	s_add_u32 s24, s24, 8
	v_cmp_ge_u64_e64 s22, s[26:27], s[10:11]
	s_addc_u32 s25, s25, 0
	s_add_u32 s12, s12, 8
	s_addc_u32 s13, s13, 0
	s_and_b32 vcc_lo, exec_lo, s22
	s_cbranch_vccnz .LBB0_10
; %bb.9:                                ;   in Loop: Header=BB0_4 Depth=1
	s_mov_b64 s[22:23], s[34:35]
	s_branch .LBB0_4
.LBB0_10:
	v_cmp_lt_u64_e64 s7, s[6:7], s[20:21]
	s_mov_b64 s[22:23], 0
	s_and_b32 vcc_lo, exec_lo, s7
	s_cbranch_vccnz .LBB0_12
; %bb.11:
	v_cvt_f32_u32_e32 v1, s20
	s_sub_i32 s12, 0, s20
	v_rcp_iflag_f32_e32 v1, v1
	v_mul_f32_e32 v1, 0x4f7ffffe, v1
	v_cvt_u32_f32_e32 v1, v1
	v_readfirstlane_b32 s7, v1
	s_mul_i32 s12, s12, s7
	s_mul_hi_u32 s12, s7, s12
	s_add_i32 s7, s7, s12
	s_mul_hi_u32 s7, s6, s7
	s_mul_i32 s12, s7, s20
	s_sub_i32 s6, s6, s12
	s_add_i32 s12, s7, 1
	s_sub_i32 s13, s6, s20
	s_cmp_ge_u32 s6, s20
	s_cselect_b32 s7, s12, s7
	s_cselect_b32 s6, s13, s6
	s_add_i32 s12, s7, 1
	s_cmp_ge_u32 s6, s20
	s_cselect_b32 s22, s12, s7
.LBB0_12:
	s_lshl_b64 s[6:7], s[10:11], 3
	v_mul_u32_u24_e32 v1, 0x1c72, v0
	s_add_u32 s6, s14, s6
	s_addc_u32 s7, s15, s7
	s_load_dwordx2 s[6:7], s[6:7], 0x0
	v_lshrrev_b32_e32 v37, 16, v1
	v_mul_lo_u16 v1, v37, 9
	v_lshlrev_b32_e32 v36, 4, v37
	v_add_nc_u32_e32 v33, 56, v37
	v_add_nc_u32_e32 v34, 0x70, v37
	;; [unrolled: 1-line block ×3, first 2 shown]
	v_sub_nc_u16 v1, v0, v1
	v_and_b32_e32 v38, 0xffff, v1
	s_waitcnt lgkmcnt(0)
	s_mul_i32 s7, s7, s22
	s_mul_hi_u32 s10, s6, s22
	s_mul_i32 s6, s6, s22
	v_add_co_u32 v1, s11, s36, v38
	s_add_i32 s10, s10, s7
	v_add_co_ci_u32_e64 v2, null, s33, 0, s11
	s_add_u32 s6, s6, s38
	s_addc_u32 s7, s10, s37
	s_add_u32 s10, s36, 9
	s_addc_u32 s11, s33, 0
	v_cmp_gt_u64_e32 vcc_lo, s[18:19], v[1:2]
	v_cmp_le_u64_e64 s10, s[10:11], s[18:19]
	v_mul_u32_u24_e32 v35, 0xe00, v38
	s_or_b32 s10, s10, vcc_lo
	s_and_saveexec_b32 s11, s10
	s_cbranch_execz .LBB0_14
; %bb.13:
	v_mad_u64_u32 v[1:2], null, s2, v38, 0
	v_mad_u64_u32 v[3:4], null, s0, v37, 0
	;; [unrolled: 1-line block ×4, first 2 shown]
	s_lshl_b64 s[12:13], s[6:7], 4
	v_add3_u32 v17, 0, v35, v36
	v_mad_u64_u32 v[9:10], null, s3, v38, v[2:3]
	v_mov_b32_e32 v2, v4
	v_mov_b32_e32 v4, v6
	v_mad_u64_u32 v[10:11], null, s0, v32, 0
	s_add_u32 s12, s4, s12
	v_mad_u64_u32 v[12:13], null, s1, v37, v[2:3]
	v_mov_b32_e32 v2, v9
	v_mad_u64_u32 v[13:14], null, s1, v33, v[4:5]
	v_mov_b32_e32 v4, v8
	v_mov_b32_e32 v8, v11
	v_lshlrev_b64 v[1:2], 4, v[1:2]
	s_addc_u32 s13, s5, s13
	v_mad_u64_u32 v[14:15], null, s1, v34, v[4:5]
	v_mov_b32_e32 v4, v12
	v_add_co_u32 v12, vcc_lo, s12, v1
	v_add_co_ci_u32_e32 v15, vcc_lo, s13, v2, vcc_lo
	v_lshlrev_b64 v[1:2], 4, v[3:4]
	v_mad_u64_u32 v[3:4], null, s1, v32, v[8:9]
	v_mov_b32_e32 v6, v13
	v_mov_b32_e32 v8, v14
	v_add_co_u32 v1, vcc_lo, v12, v1
	v_lshlrev_b64 v[4:5], 4, v[5:6]
	v_mov_b32_e32 v11, v3
	v_lshlrev_b64 v[6:7], 4, v[7:8]
	v_add_co_ci_u32_e32 v2, vcc_lo, v15, v2, vcc_lo
	v_add_co_u32 v8, vcc_lo, v12, v4
	v_lshlrev_b64 v[3:4], 4, v[10:11]
	v_add_co_ci_u32_e32 v9, vcc_lo, v15, v5, vcc_lo
	v_add_co_u32 v10, vcc_lo, v12, v6
	v_add_co_ci_u32_e32 v11, vcc_lo, v15, v7, vcc_lo
	v_add_co_u32 v13, vcc_lo, v12, v3
	v_add_co_ci_u32_e32 v14, vcc_lo, v15, v4, vcc_lo
	s_clause 0x3
	global_load_dwordx4 v[1:4], v[1:2], off
	global_load_dwordx4 v[5:8], v[8:9], off
	global_load_dwordx4 v[9:12], v[10:11], off
	global_load_dwordx4 v[13:16], v[13:14], off
	s_waitcnt vmcnt(3)
	ds_write_b128 v17, v[1:4]
	s_waitcnt vmcnt(2)
	ds_write_b128 v17, v[5:8] offset:896
	s_waitcnt vmcnt(1)
	ds_write_b128 v17, v[9:12] offset:1792
	;; [unrolled: 2-line block ×3, first 2 shown]
.LBB0_14:
	s_or_b32 exec_lo, exec_lo, s11
	s_add_u32 s11, 0, 0x71c4fc00
	s_addc_u32 s12, 0, 0x7c
	s_mul_hi_u32 s14, s11, -9
	s_add_i32 s12, s12, 0x1c71c6a0
	v_mov_b32_e32 v1, 0x493
	s_sub_i32 s14, s14, s11
	s_mul_i32 s18, s12, -9
	s_mul_i32 s13, s11, -9
	s_add_i32 s14, s14, s18
	s_mul_hi_u32 s15, s12, s13
	s_mul_i32 s18, s12, s13
	s_mul_i32 s19, s11, s14
	s_mul_hi_u32 s13, s11, s13
	v_mul_u32_u24_sdwa v1, v0, v1 dst_sel:DWORD dst_unused:UNUSED_PAD src0_sel:WORD_0 src1_sel:DWORD
	s_mul_hi_u32 s20, s11, s14
	s_add_u32 s13, s13, s19
	s_addc_u32 s19, 0, s20
	s_mul_hi_u32 s20, s12, s14
	s_add_u32 s13, s13, s18
	s_addc_u32 s13, s19, s15
	s_mul_i32 s14, s12, s14
	v_lshrrev_b32_e32 v5, 16, v1
	s_addc_u32 s15, s20, 0
	s_add_u32 s13, s13, s14
	s_waitcnt lgkmcnt(0)
	v_add_co_u32 v3, s11, s11, s13
	s_addc_u32 s13, 0, s15
	s_cmp_lg_u32 s11, 0
	v_add_co_u32 v40, s11, s36, v5
	v_add_co_ci_u32_e64 v6, null, s33, 0, s11
	s_addc_u32 s11, s12, s13
	v_mul_hi_u32 v7, v40, v3
	v_mad_u64_u32 v[1:2], null, v40, s11, 0
	v_mad_u64_u32 v[3:4], null, v6, v3, 0
	v_mul_lo_u16 v5, v5, 56
	s_barrier
	buffer_gl0_inv
	s_mov_b32 s12, 0x667f3bcd
	v_add_co_u32 v7, vcc_lo, v7, v1
	v_add_co_ci_u32_e32 v8, vcc_lo, 0, v2, vcc_lo
	v_mad_u64_u32 v[1:2], null, v6, s11, 0
	v_add_co_u32 v3, vcc_lo, v7, v3
	v_add_co_ci_u32_e32 v3, vcc_lo, v8, v4, vcc_lo
	v_sub_nc_u16 v57, v0, v5
	s_mov_b32 s13, 0xbfe6a09e
	v_add_co_ci_u32_e32 v2, vcc_lo, 0, v2, vcc_lo
	v_add_co_u32 v1, vcc_lo, v3, v1
	v_and_b32_e32 v42, 0xffff, v57
	v_add_co_ci_u32_e32 v3, vcc_lo, 0, v2, vcc_lo
	v_mad_u64_u32 v[1:2], null, v1, 9, 0
	s_mov_b32 s15, 0x3fe6a09e
	s_mov_b32 s14, s12
	s_mov_b32 s11, exec_lo
	v_mad_u64_u32 v[2:3], null, v3, 9, v[2:3]
	v_sub_co_u32 v1, vcc_lo, v40, v1
	v_sub_co_ci_u32_e32 v2, vcc_lo, v6, v2, vcc_lo
	v_sub_co_u32 v3, vcc_lo, v1, 9
	v_subrev_co_ci_u32_e32 v4, vcc_lo, 0, v2, vcc_lo
	v_cmp_lt_u32_e32 vcc_lo, 8, v3
	v_cndmask_b32_e64 v6, 0, -1, vcc_lo
	v_cmp_lt_u32_e32 vcc_lo, 8, v1
	v_cndmask_b32_e64 v7, 0, -1, vcc_lo
	v_cmp_eq_u32_e32 vcc_lo, 0, v4
	v_cndmask_b32_e32 v4, -1, v6, vcc_lo
	v_cmp_eq_u32_e32 vcc_lo, 0, v2
	v_add_nc_u32_e32 v6, -9, v3
	v_cndmask_b32_e32 v0, -1, v7, vcc_lo
	v_cmp_ne_u32_e32 vcc_lo, 0, v4
	v_cndmask_b32_e32 v2, v3, v6, vcc_lo
	v_cmp_ne_u32_e32 vcc_lo, 0, v0
	v_cndmask_b32_e32 v0, v1, v2, vcc_lo
	v_lshlrev_b32_e32 v1, 4, v42
	v_mul_u32_u24_e32 v0, 0xe0, v0
	v_add_nc_u32_e32 v44, 0, v1
	v_lshlrev_b32_e32 v43, 4, v0
	v_add_nc_u32_e32 v39, v44, v43
	v_add3_u32 v41, 0, v43, v1
	ds_read_b128 v[0:3], v39 offset:1792
	ds_read_b128 v[4:7], v41
	ds_read_b128 v[8:11], v39 offset:896
	ds_read_b128 v[12:15], v39 offset:2688
	;; [unrolled: 1-line block ×6, first 2 shown]
	s_waitcnt lgkmcnt(0)
	s_barrier
	buffer_gl0_inv
	v_add_f64 v[0:1], v[4:5], -v[0:1]
	v_add_f64 v[2:3], v[6:7], -v[2:3]
	;; [unrolled: 1-line block ×8, first 2 shown]
	v_fma_f64 v[4:5], v[4:5], 2.0, -v[0:1]
	v_fma_f64 v[6:7], v[6:7], 2.0, -v[2:3]
	v_fma_f64 v[8:9], v[8:9], 2.0, -v[12:13]
	v_fma_f64 v[10:11], v[10:11], 2.0, -v[14:15]
	v_fma_f64 v[16:17], v[16:17], 2.0, -v[20:21]
	v_fma_f64 v[18:19], v[18:19], 2.0, -v[22:23]
	v_add_f64 v[45:46], v[0:1], v[14:15]
	v_add_f64 v[47:48], v[2:3], -v[12:13]
	v_fma_f64 v[12:13], v[24:25], 2.0, -v[28:29]
	v_fma_f64 v[14:15], v[26:27], 2.0, -v[30:31]
	v_add_f64 v[30:31], v[20:21], v[30:31]
	v_add_f64 v[28:29], v[22:23], -v[28:29]
	v_add_f64 v[8:9], v[4:5], -v[8:9]
	;; [unrolled: 1-line block ×3, first 2 shown]
	v_fma_f64 v[49:50], v[0:1], 2.0, -v[45:46]
	v_fma_f64 v[51:52], v[2:3], 2.0, -v[47:48]
	v_add_f64 v[0:1], v[16:17], -v[12:13]
	v_add_f64 v[2:3], v[18:19], -v[14:15]
	v_fma_f64 v[12:13], v[20:21], 2.0, -v[30:31]
	v_fma_f64 v[14:15], v[22:23], 2.0, -v[28:29]
	v_fma_f64 v[20:21], v[30:31], s[14:15], v[45:46]
	v_fma_f64 v[55:56], v[28:29], s[14:15], v[47:48]
	v_fma_f64 v[4:5], v[4:5], 2.0, -v[8:9]
	v_fma_f64 v[6:7], v[6:7], 2.0, -v[10:11]
	;; [unrolled: 1-line block ×4, first 2 shown]
	v_fma_f64 v[22:23], v[12:13], s[12:13], v[49:50]
	v_fma_f64 v[53:54], v[14:15], s[12:13], v[51:52]
	v_add_f64 v[24:25], v[8:9], v[2:3]
	v_add_f64 v[26:27], v[10:11], -v[0:1]
	v_fma_f64 v[28:29], v[28:29], s[14:15], v[20:21]
	v_fma_f64 v[30:31], v[30:31], s[12:13], v[55:56]
	v_add_f64 v[16:17], v[4:5], -v[16:17]
	v_add_f64 v[18:19], v[6:7], -v[18:19]
	v_fma_f64 v[20:21], v[14:15], s[14:15], v[22:23]
	v_fma_f64 v[22:23], v[12:13], s[12:13], v[53:54]
	v_fma_f64 v[12:13], v[8:9], 2.0, -v[24:25]
	v_fma_f64 v[14:15], v[10:11], 2.0, -v[26:27]
	;; [unrolled: 1-line block ×8, first 2 shown]
	v_cmpx_gt_u16_e32 28, v57
	s_cbranch_execz .LBB0_16
; %bb.15:
	v_mul_u32_u24_e32 v45, 0x70, v42
	v_add3_u32 v44, v44, v45, v43
	ds_write_b128 v44, v[0:3]
	ds_write_b128 v44, v[4:7] offset:16
	ds_write_b128 v44, v[12:15] offset:32
	;; [unrolled: 1-line block ×7, first 2 shown]
.LBB0_16:
	s_or_b32 exec_lo, exec_lo, s11
	v_cmp_gt_u16_e32 vcc_lo, 32, v42
	s_waitcnt lgkmcnt(0)
	s_barrier
	buffer_gl0_inv
	s_and_saveexec_b32 s11, vcc_lo
	s_cbranch_execz .LBB0_18
; %bb.17:
	ds_read_b128 v[0:3], v41
	ds_read_b128 v[4:7], v39 offset:512
	ds_read_b128 v[12:15], v39 offset:1024
	;; [unrolled: 1-line block ×6, first 2 shown]
.LBB0_18:
	s_or_b32 exec_lo, exec_lo, s11
	s_waitcnt lgkmcnt(0)
	s_barrier
	buffer_gl0_inv
	s_and_saveexec_b32 s11, vcc_lo
	s_cbranch_execz .LBB0_20
; %bb.19:
	v_and_b32_e32 v76, 7, v42
	s_mov_b32 s12, 0xe976ee23
	s_mov_b32 s13, 0x3fe11646
	s_mov_b32 s14, 0x37e14327
	s_mov_b32 s15, 0x3fe948f6
	v_mul_u32_u24_e32 v28, 6, v76
	s_mov_b32 s18, 0x429ad128
	s_mov_b32 s19, 0xbfebfeb5
	;; [unrolled: 1-line block ×4, first 2 shown]
	v_lshlrev_b32_e32 v60, 4, v28
	s_mov_b32 s20, 0xaaaaaaaa
	s_mov_b32 s21, 0xbff2aaaa
	s_clause 0x5
	global_load_dwordx4 v[28:31], v60, s[16:17] offset:16
	global_load_dwordx4 v[44:47], v60, s[16:17] offset:64
	global_load_dwordx4 v[48:51], v60, s[16:17]
	global_load_dwordx4 v[52:55], v60, s[16:17] offset:80
	global_load_dwordx4 v[56:59], v60, s[16:17] offset:48
	;; [unrolled: 1-line block ×3, first 2 shown]
	s_waitcnt vmcnt(5)
	v_mul_f64 v[64:65], v[14:15], v[30:31]
	v_mul_f64 v[30:31], v[12:13], v[30:31]
	s_waitcnt vmcnt(4)
	v_mul_f64 v[66:67], v[20:21], v[46:47]
	s_waitcnt vmcnt(3)
	;; [unrolled: 2-line block ×3, first 2 shown]
	v_mul_f64 v[70:71], v[24:25], v[54:55]
	v_mul_f64 v[46:47], v[22:23], v[46:47]
	;; [unrolled: 1-line block ×4, first 2 shown]
	s_waitcnt vmcnt(1)
	v_mul_f64 v[72:73], v[18:19], v[58:59]
	s_waitcnt vmcnt(0)
	v_mul_f64 v[74:75], v[10:11], v[62:63]
	v_fma_f64 v[12:13], v[12:13], v[28:29], v[64:65]
	v_fma_f64 v[14:15], v[14:15], v[28:29], -v[30:31]
	v_mul_f64 v[28:29], v[8:9], v[62:63]
	v_mul_f64 v[30:31], v[16:17], v[58:59]
	v_fma_f64 v[22:23], v[22:23], v[44:45], -v[66:67]
	v_fma_f64 v[6:7], v[6:7], v[48:49], -v[68:69]
	;; [unrolled: 1-line block ×3, first 2 shown]
	v_fma_f64 v[20:21], v[20:21], v[44:45], v[46:47]
	v_fma_f64 v[4:5], v[4:5], v[48:49], v[50:51]
	;; [unrolled: 1-line block ×5, first 2 shown]
	v_fma_f64 v[10:11], v[10:11], v[60:61], -v[28:29]
	v_fma_f64 v[18:19], v[18:19], v[56:57], -v[30:31]
	v_add_f64 v[28:29], v[14:15], v[22:23]
	v_add_f64 v[14:15], v[14:15], -v[22:23]
	v_add_f64 v[30:31], v[6:7], v[26:27]
	v_add_f64 v[44:45], v[12:13], v[20:21]
	v_add_f64 v[12:13], v[12:13], -v[20:21]
	v_add_f64 v[46:47], v[4:5], v[24:25]
	v_add_f64 v[4:5], v[4:5], -v[24:25]
	v_add_f64 v[48:49], v[16:17], -v[8:9]
	v_add_f64 v[8:9], v[8:9], v[16:17]
	v_add_f64 v[6:7], v[6:7], -v[26:27]
	v_add_f64 v[20:21], v[10:11], v[18:19]
	;; [unrolled: 2-line block ×3, first 2 shown]
	v_add_f64 v[18:19], v[44:45], v[46:47]
	v_add_f64 v[52:53], v[12:13], -v[4:5]
	v_add_f64 v[22:23], v[48:49], -v[12:13]
	;; [unrolled: 1-line block ×4, first 2 shown]
	v_add_f64 v[12:13], v[48:49], v[12:13]
	v_add_f64 v[48:49], v[4:5], -v[48:49]
	v_add_f64 v[24:25], v[30:31], -v[20:21]
	;; [unrolled: 1-line block ×4, first 2 shown]
	v_add_f64 v[16:17], v[20:21], v[16:17]
	v_add_f64 v[20:21], v[20:21], -v[28:29]
	v_add_f64 v[28:29], v[28:29], -v[30:31]
	v_add_f64 v[18:19], v[8:9], v[18:19]
	v_add_f64 v[8:9], v[8:9], -v[44:45]
	v_mul_f64 v[22:23], v[22:23], s[12:13]
	v_add_f64 v[30:31], v[44:45], -v[46:47]
	v_mul_f64 v[44:45], v[50:51], s[14:15]
	v_mul_f64 v[46:47], v[52:53], s[18:19]
	v_add_f64 v[10:11], v[10:11], v[14:15]
	v_mul_f64 v[50:51], v[54:55], s[18:19]
	v_add_f64 v[4:5], v[12:13], v[4:5]
	v_mul_f64 v[24:25], v[24:25], s[14:15]
	v_mul_f64 v[26:27], v[26:27], s[12:13]
	s_mov_b32 s12, 0x36b3c0b5
	s_mov_b32 s13, 0x3fac98ee
	v_add_f64 v[2:3], v[2:3], v[16:17]
	v_mul_f64 v[14:15], v[20:21], s[12:13]
	v_add_f64 v[0:1], v[0:1], v[18:19]
	v_mul_f64 v[58:59], v[8:9], s[12:13]
	s_mov_b32 s15, 0xbfd5d0dc
	s_mov_b32 s14, 0xb247c609
	v_fma_f64 v[62:63], v[30:31], s[22:23], -v[44:45]
	v_fma_f64 v[12:13], v[48:49], s[14:15], v[22:23]
	v_fma_f64 v[22:23], v[52:53], s[18:19], -v[22:23]
	v_add_f64 v[6:7], v[10:11], v[6:7]
	v_fma_f64 v[8:9], v[8:9], s[12:13], v[44:45]
	v_fma_f64 v[20:21], v[20:21], s[12:13], v[24:25]
	;; [unrolled: 1-line block ×3, first 2 shown]
	s_mov_b32 s15, 0x3fd5d0dc
	v_fma_f64 v[24:25], v[28:29], s[22:23], -v[24:25]
	s_mov_b32 s23, 0x3fe77f67
	v_fma_f64 v[46:47], v[48:49], s[14:15], -v[46:47]
	v_fma_f64 v[16:17], v[16:17], s[20:21], v[2:3]
	v_fma_f64 v[10:11], v[28:29], s[22:23], -v[14:15]
	v_fma_f64 v[18:19], v[18:19], s[20:21], v[0:1]
	v_fma_f64 v[14:15], v[54:55], s[18:19], -v[26:27]
	v_fma_f64 v[26:27], v[56:57], s[14:15], -v[50:51]
	;; [unrolled: 1-line block ×3, first 2 shown]
	s_mov_b32 s12, 0x37c3f68c
	s_mov_b32 s13, 0xbfdc38aa
	v_fma_f64 v[12:13], v[4:5], s[12:13], v[12:13]
	v_fma_f64 v[22:23], v[4:5], s[12:13], v[22:23]
	v_fma_f64 v[30:31], v[6:7], s[12:13], v[60:61]
	v_fma_f64 v[4:5], v[4:5], s[12:13], v[46:47]
	v_add_f64 v[20:21], v[20:21], v[16:17]
	v_add_f64 v[24:25], v[24:25], v[16:17]
	;; [unrolled: 1-line block ×4, first 2 shown]
	v_fma_f64 v[46:47], v[6:7], s[12:13], v[26:27]
	v_add_f64 v[8:9], v[62:63], v[18:19]
	v_fma_f64 v[44:45], v[6:7], s[12:13], v[14:15]
	v_add_f64 v[28:29], v[28:29], v[18:19]
	v_lshrrev_b32_e32 v6, 3, v42
	v_mul_u32_u24_e32 v50, 56, v6
	v_add_f64 v[26:27], v[20:21], -v[12:13]
	v_add_f64 v[10:11], v[4:5], v[24:25]
	v_add_f64 v[14:15], v[16:17], -v[22:23]
	v_add_f64 v[18:19], v[22:23], v[16:17]
	;; [unrolled: 2-line block ×3, first 2 shown]
	v_add_f64 v[6:7], v[12:13], v[20:21]
	v_add_f64 v[20:21], v[46:47], v[8:9]
	v_add_f64 v[16:17], v[28:29], -v[44:45]
	v_add_f64 v[12:13], v[44:45], v[28:29]
	v_add_f64 v[8:9], v[8:9], -v[46:47]
	v_add_f64 v[4:5], v[48:49], -v[30:31]
	v_or_b32_e32 v28, v50, v76
	v_lshlrev_b32_e32 v28, 4, v28
	v_add3_u32 v28, 0, v28, v43
	ds_write_b128 v28, v[0:3]
	ds_write_b128 v28, v[24:27] offset:128
	ds_write_b128 v28, v[20:23] offset:256
	ds_write_b128 v28, v[16:19] offset:384
	ds_write_b128 v28, v[12:15] offset:512
	ds_write_b128 v28, v[8:11] offset:640
	ds_write_b128 v28, v[4:7] offset:768
.LBB0_20:
	s_or_b32 exec_lo, exec_lo, s11
	v_mul_u32_u24_e32 v0, 3, v42
	s_waitcnt lgkmcnt(0)
	s_barrier
	buffer_gl0_inv
	v_add_nc_u32_e32 v13, 0xa8, v42
	v_lshlrev_b32_e32 v8, 4, v0
	v_add_nc_u32_e32 v12, 56, v42
	v_mul_lo_u32 v70, v40, v42
	v_add_nc_u32_e32 v14, 0x70, v42
	v_mul_lo_u32 v72, v40, v13
	s_clause 0x2
	global_load_dwordx4 v[0:3], v8, s[16:17] offset:768
	global_load_dwordx4 v[4:7], v8, s[16:17] offset:784
	;; [unrolled: 1-line block ×3, first 2 shown]
	v_mul_lo_u32 v71, v40, v12
	v_mov_b32_e32 v16, 4
	v_mul_lo_u32 v73, v40, v14
	ds_read_b128 v[12:15], v39 offset:896
	v_bfe_u32 v17, v70, 8, 8
	v_bfe_u32 v26, v72, 8, 8
	v_lshlrev_b32_sdwa v18, v16, v70 dst_sel:DWORD dst_unused:UNUSED_PAD src0_sel:DWORD src1_sel:BYTE_0
	v_bfe_u32 v24, v71, 8, 8
	v_lshl_or_b32 v20, v17, 4, 0x1000
	v_lshlrev_b32_sdwa v25, v16, v71 dst_sel:DWORD dst_unused:UNUSED_PAD src0_sel:DWORD src1_sel:BYTE_0
	v_bfe_u32 v28, v73, 8, 8
	v_lshlrev_b32_sdwa v29, v16, v72 dst_sel:DWORD dst_unused:UNUSED_PAD src0_sel:DWORD src1_sel:BYTE_0
	v_lshl_or_b32 v42, v26, 4, 0x1000
	v_lshl_or_b32 v46, v24, 4, 0x1000
	v_lshlrev_b32_sdwa v40, v16, v73 dst_sel:DWORD dst_unused:UNUSED_PAD src0_sel:DWORD src1_sel:BYTE_0
	s_clause 0x2
	global_load_dwordx4 v[16:19], v18, s[8:9]
	global_load_dwordx4 v[20:23], v20, s[8:9]
	;; [unrolled: 1-line block ×3, first 2 shown]
	v_lshl_or_b32 v54, v28, 4, 0x1000
	s_clause 0x4
	global_load_dwordx4 v[28:31], v29, s[8:9]
	global_load_dwordx4 v[42:45], v42, s[8:9]
	;; [unrolled: 1-line block ×5, first 2 shown]
	ds_read_b128 v[58:61], v39 offset:1792
	ds_read_b128 v[62:65], v41
	v_bfe_u32 v72, v72, 16, 8
	v_bfe_u32 v71, v71, 16, 8
	v_bfe_u32 v70, v70, 16, 8
	v_bfe_u32 v73, v73, 16, 8
	ds_read_b128 v[66:69], v39 offset:2688
	v_lshl_or_b32 v72, v72, 4, 0x2000
	v_lshl_or_b32 v79, v71, 4, 0x2000
	;; [unrolled: 1-line block ×4, first 2 shown]
	global_load_dwordx4 v[70:73], v72, s[8:9]
	s_waitcnt vmcnt(11) lgkmcnt(3)
	v_mul_f64 v[40:41], v[14:15], v[2:3]
	v_mul_f64 v[2:3], v[12:13], v[2:3]
	s_waitcnt vmcnt(10) lgkmcnt(2)
	v_mul_f64 v[74:75], v[60:61], v[6:7]
	v_mul_f64 v[6:7], v[58:59], v[6:7]
	v_fma_f64 v[40:41], v[12:13], v[0:1], v[40:41]
	v_fma_f64 v[76:77], v[14:15], v[0:1], -v[2:3]
	s_clause 0x1
	global_load_dwordx4 v[0:3], v79, s[8:9]
	global_load_dwordx4 v[12:15], v80, s[8:9]
	v_fma_f64 v[58:59], v[58:59], v[4:5], v[74:75]
	v_fma_f64 v[60:61], v[60:61], v[4:5], -v[6:7]
	global_load_dwordx4 v[4:7], v78, s[8:9]
	s_waitcnt vmcnt(12) lgkmcnt(0)
	v_mul_f64 v[74:75], v[66:67], v[10:11]
	v_mul_f64 v[10:11], v[68:69], v[10:11]
	s_waitcnt vmcnt(4)
	v_mul_f64 v[78:79], v[52:53], v[56:57]
	s_waitcnt vmcnt(0)
	s_barrier
	buffer_gl0_inv
	v_add_f64 v[58:59], v[62:63], -v[58:59]
	v_add_f64 v[60:61], v[64:65], -v[60:61]
	v_fma_f64 v[68:69], v[68:69], v[8:9], -v[74:75]
	v_fma_f64 v[8:9], v[66:67], v[8:9], v[10:11]
	v_mul_f64 v[10:11], v[18:19], v[22:23]
	v_mul_f64 v[22:23], v[16:17], v[22:23]
	;; [unrolled: 1-line block ×4, first 2 shown]
	v_add_f64 v[68:69], v[76:77], -v[68:69]
	v_add_f64 v[8:9], v[40:41], -v[8:9]
	v_fma_f64 v[10:11], v[16:17], v[20:21], -v[10:11]
	v_fma_f64 v[16:17], v[18:19], v[20:21], v[22:23]
	v_mul_f64 v[18:19], v[24:25], v[48:49]
	v_mul_f64 v[22:23], v[28:29], v[44:45]
	v_fma_f64 v[28:29], v[28:29], v[42:43], -v[66:67]
	v_mul_f64 v[20:21], v[50:51], v[56:57]
	v_fma_f64 v[24:25], v[24:25], v[46:47], -v[74:75]
	v_fma_f64 v[44:45], v[50:51], v[54:55], -v[78:79]
	v_fma_f64 v[48:49], v[62:63], 2.0, -v[58:59]
	v_fma_f64 v[50:51], v[64:65], 2.0, -v[60:61]
	;; [unrolled: 1-line block ×4, first 2 shown]
	v_add_f64 v[8:9], v[60:61], -v[8:9]
	v_fma_f64 v[18:19], v[26:27], v[46:47], v[18:19]
	v_fma_f64 v[22:23], v[30:31], v[42:43], v[22:23]
	v_mul_f64 v[26:27], v[28:29], v[72:73]
	v_fma_f64 v[20:21], v[52:53], v[54:55], v[20:21]
	v_add_f64 v[42:43], v[58:59], v[68:69]
	v_add_f64 v[54:55], v[50:51], -v[56:57]
	v_add_f64 v[40:41], v[48:49], -v[40:41]
	v_mul_f64 v[56:57], v[22:23], v[72:73]
	v_fma_f64 v[22:23], v[70:71], v[22:23], v[26:27]
	v_fma_f64 v[26:27], v[60:61], 2.0, -v[8:9]
	v_fma_f64 v[48:49], v[48:49], 2.0, -v[40:41]
	v_mul_f64 v[30:31], v[24:25], v[2:3]
	v_mul_f64 v[46:47], v[44:45], v[14:15]
	;; [unrolled: 1-line block ×6, first 2 shown]
	v_fma_f64 v[18:19], v[0:1], v[18:19], v[30:31]
	v_fma_f64 v[30:31], v[58:59], 2.0, -v[42:43]
	v_fma_f64 v[20:21], v[12:13], v[20:21], v[46:47]
	v_fma_f64 v[46:47], v[50:51], 2.0, -v[54:55]
	v_fma_f64 v[16:17], v[4:5], v[16:17], v[52:53]
	v_fma_f64 v[50:51], v[4:5], v[10:11], -v[6:7]
	v_fma_f64 v[6:7], v[0:1], v[24:25], -v[2:3]
	;; [unrolled: 1-line block ×3, first 2 shown]
	v_mul_f64 v[0:1], v[8:9], v[22:23]
	v_mul_f64 v[4:5], v[42:43], v[22:23]
	v_fma_f64 v[10:11], v[12:13], v[44:45], -v[14:15]
	v_mul_f64 v[12:13], v[26:27], v[18:19]
	v_mul_f64 v[14:15], v[30:31], v[18:19]
	;; [unrolled: 1-line block ×6, first 2 shown]
	v_fma_f64 v[0:1], v[42:43], v[2:3], v[0:1]
	v_fma_f64 v[2:3], v[8:9], v[2:3], -v[4:5]
	v_fma_f64 v[4:5], v[30:31], v[6:7], v[12:13]
	v_fma_f64 v[6:7], v[26:27], v[6:7], -v[14:15]
	v_fma_f64 v[8:9], v[40:41], v[10:11], v[18:19]
	v_fma_f64 v[10:11], v[54:55], v[10:11], -v[20:21]
	v_fma_f64 v[12:13], v[48:49], v[50:51], v[22:23]
	v_fma_f64 v[14:15], v[46:47], v[50:51], -v[16:17]
	ds_write_b128 v39, v[0:3] offset:2688
	ds_write_b128 v39, v[4:7] offset:896
	;; [unrolled: 1-line block ×3, first 2 shown]
	ds_write_b128 v39, v[12:15]
	s_waitcnt lgkmcnt(0)
	s_barrier
	buffer_gl0_inv
	s_and_saveexec_b32 s8, s10
	s_cbranch_execz .LBB0_22
; %bb.21:
	v_mad_u64_u32 v[0:1], null, s2, v38, 0
	v_mad_u64_u32 v[2:3], null, s0, v37, 0
	;; [unrolled: 1-line block ×6, first 2 shown]
	s_lshl_b64 s[2:3], s[6:7], 4
	v_add3_u32 v12, 0, v35, v36
	s_add_u32 s2, s4, s2
	s_addc_u32 s3, s5, s3
	v_mad_u64_u32 v[5:6], null, s1, v37, v[3:4]
	v_mov_b32_e32 v1, v4
	v_mov_b32_e32 v4, v9
	v_lshlrev_b64 v[0:1], 4, v[0:1]
	v_mov_b32_e32 v3, v5
	v_mov_b32_e32 v5, v11
	v_add_co_u32 v25, vcc_lo, s2, v0
	v_mad_u64_u32 v[6:7], null, s1, v33, v[4:5]
	v_lshlrev_b64 v[2:3], 4, v[2:3]
	v_mov_b32_e32 v0, v17
	v_add_co_ci_u32_e32 v26, vcc_lo, s3, v1, vcc_lo
	v_mad_u64_u32 v[4:5], null, s1, v34, v[5:6]
	v_mov_b32_e32 v9, v6
	v_mad_u64_u32 v[20:21], null, s1, v32, v[0:1]
	v_add_co_u32 v18, vcc_lo, v25, v2
	v_add_co_ci_u32_e32 v19, vcc_lo, v26, v3, vcc_lo
	v_mov_b32_e32 v11, v4
	ds_read_b128 v[0:3], v12
	ds_read_b128 v[4:7], v12 offset:896
	v_lshlrev_b64 v[21:22], 4, v[8:9]
	v_mov_b32_e32 v17, v20
	v_lshlrev_b64 v[23:24], 4, v[10:11]
	ds_read_b128 v[8:11], v12 offset:1792
	ds_read_b128 v[12:15], v12 offset:2688
	v_add_co_u32 v20, vcc_lo, v25, v21
	v_lshlrev_b64 v[16:17], 4, v[16:17]
	v_add_co_ci_u32_e32 v21, vcc_lo, v26, v22, vcc_lo
	v_add_co_u32 v22, vcc_lo, v25, v23
	v_add_co_ci_u32_e32 v23, vcc_lo, v26, v24, vcc_lo
	v_add_co_u32 v16, vcc_lo, v25, v16
	v_add_co_ci_u32_e32 v17, vcc_lo, v26, v17, vcc_lo
	s_waitcnt lgkmcnt(3)
	global_store_dwordx4 v[18:19], v[0:3], off
	s_waitcnt lgkmcnt(2)
	global_store_dwordx4 v[20:21], v[4:7], off
	;; [unrolled: 2-line block ×4, first 2 shown]
.LBB0_22:
	s_endpgm
	.section	.rodata,"a",@progbits
	.p2align	6, 0x0
	.amdhsa_kernel fft_rtc_back_len224_factors_8_7_4_wgs_504_tpt_56_dp_ip_CI_sbcc_twdbase8_3step
		.amdhsa_group_segment_fixed_size 0
		.amdhsa_private_segment_fixed_size 0
		.amdhsa_kernarg_size 96
		.amdhsa_user_sgpr_count 6
		.amdhsa_user_sgpr_private_segment_buffer 1
		.amdhsa_user_sgpr_dispatch_ptr 0
		.amdhsa_user_sgpr_queue_ptr 0
		.amdhsa_user_sgpr_kernarg_segment_ptr 1
		.amdhsa_user_sgpr_dispatch_id 0
		.amdhsa_user_sgpr_flat_scratch_init 0
		.amdhsa_user_sgpr_private_segment_size 0
		.amdhsa_wavefront_size32 1
		.amdhsa_uses_dynamic_stack 0
		.amdhsa_system_sgpr_private_segment_wavefront_offset 0
		.amdhsa_system_sgpr_workgroup_id_x 1
		.amdhsa_system_sgpr_workgroup_id_y 0
		.amdhsa_system_sgpr_workgroup_id_z 0
		.amdhsa_system_sgpr_workgroup_info 0
		.amdhsa_system_vgpr_workitem_id 0
		.amdhsa_next_free_vgpr 81
		.amdhsa_next_free_sgpr 46
		.amdhsa_reserve_vcc 1
		.amdhsa_reserve_flat_scratch 0
		.amdhsa_float_round_mode_32 0
		.amdhsa_float_round_mode_16_64 0
		.amdhsa_float_denorm_mode_32 3
		.amdhsa_float_denorm_mode_16_64 3
		.amdhsa_dx10_clamp 1
		.amdhsa_ieee_mode 1
		.amdhsa_fp16_overflow 0
		.amdhsa_workgroup_processor_mode 1
		.amdhsa_memory_ordered 1
		.amdhsa_forward_progress 0
		.amdhsa_shared_vgpr_count 0
		.amdhsa_exception_fp_ieee_invalid_op 0
		.amdhsa_exception_fp_denorm_src 0
		.amdhsa_exception_fp_ieee_div_zero 0
		.amdhsa_exception_fp_ieee_overflow 0
		.amdhsa_exception_fp_ieee_underflow 0
		.amdhsa_exception_fp_ieee_inexact 0
		.amdhsa_exception_int_div_zero 0
	.end_amdhsa_kernel
	.text
.Lfunc_end0:
	.size	fft_rtc_back_len224_factors_8_7_4_wgs_504_tpt_56_dp_ip_CI_sbcc_twdbase8_3step, .Lfunc_end0-fft_rtc_back_len224_factors_8_7_4_wgs_504_tpt_56_dp_ip_CI_sbcc_twdbase8_3step
                                        ; -- End function
	.section	.AMDGPU.csdata,"",@progbits
; Kernel info:
; codeLenInByte = 5692
; NumSgprs: 48
; NumVgprs: 81
; ScratchSize: 0
; MemoryBound: 0
; FloatMode: 240
; IeeeMode: 1
; LDSByteSize: 0 bytes/workgroup (compile time only)
; SGPRBlocks: 5
; VGPRBlocks: 10
; NumSGPRsForWavesPerEU: 48
; NumVGPRsForWavesPerEU: 81
; Occupancy: 10
; WaveLimiterHint : 1
; COMPUTE_PGM_RSRC2:SCRATCH_EN: 0
; COMPUTE_PGM_RSRC2:USER_SGPR: 6
; COMPUTE_PGM_RSRC2:TRAP_HANDLER: 0
; COMPUTE_PGM_RSRC2:TGID_X_EN: 1
; COMPUTE_PGM_RSRC2:TGID_Y_EN: 0
; COMPUTE_PGM_RSRC2:TGID_Z_EN: 0
; COMPUTE_PGM_RSRC2:TIDIG_COMP_CNT: 0
	.text
	.p2alignl 6, 3214868480
	.fill 48, 4, 3214868480
	.type	__hip_cuid_8b282b48748107d8,@object ; @__hip_cuid_8b282b48748107d8
	.section	.bss,"aw",@nobits
	.globl	__hip_cuid_8b282b48748107d8
__hip_cuid_8b282b48748107d8:
	.byte	0                               ; 0x0
	.size	__hip_cuid_8b282b48748107d8, 1

	.ident	"AMD clang version 19.0.0git (https://github.com/RadeonOpenCompute/llvm-project roc-6.4.0 25133 c7fe45cf4b819c5991fe208aaa96edf142730f1d)"
	.section	".note.GNU-stack","",@progbits
	.addrsig
	.addrsig_sym __hip_cuid_8b282b48748107d8
	.amdgpu_metadata
---
amdhsa.kernels:
  - .args:
      - .actual_access:  read_only
        .address_space:  global
        .offset:         0
        .size:           8
        .value_kind:     global_buffer
      - .address_space:  global
        .offset:         8
        .size:           8
        .value_kind:     global_buffer
      - .offset:         16
        .size:           8
        .value_kind:     by_value
      - .actual_access:  read_only
        .address_space:  global
        .offset:         24
        .size:           8
        .value_kind:     global_buffer
      - .actual_access:  read_only
        .address_space:  global
        .offset:         32
        .size:           8
        .value_kind:     global_buffer
      - .offset:         40
        .size:           8
        .value_kind:     by_value
      - .actual_access:  read_only
        .address_space:  global
        .offset:         48
        .size:           8
        .value_kind:     global_buffer
      - .actual_access:  read_only
        .address_space:  global
        .offset:         56
        .size:           8
        .value_kind:     global_buffer
      - .offset:         64
        .size:           4
        .value_kind:     by_value
      - .actual_access:  read_only
        .address_space:  global
        .offset:         72
        .size:           8
        .value_kind:     global_buffer
      - .actual_access:  read_only
        .address_space:  global
        .offset:         80
        .size:           8
        .value_kind:     global_buffer
      - .address_space:  global
        .offset:         88
        .size:           8
        .value_kind:     global_buffer
    .group_segment_fixed_size: 0
    .kernarg_segment_align: 8
    .kernarg_segment_size: 96
    .language:       OpenCL C
    .language_version:
      - 2
      - 0
    .max_flat_workgroup_size: 504
    .name:           fft_rtc_back_len224_factors_8_7_4_wgs_504_tpt_56_dp_ip_CI_sbcc_twdbase8_3step
    .private_segment_fixed_size: 0
    .sgpr_count:     48
    .sgpr_spill_count: 0
    .symbol:         fft_rtc_back_len224_factors_8_7_4_wgs_504_tpt_56_dp_ip_CI_sbcc_twdbase8_3step.kd
    .uniform_work_group_size: 1
    .uses_dynamic_stack: false
    .vgpr_count:     81
    .vgpr_spill_count: 0
    .wavefront_size: 32
    .workgroup_processor_mode: 1
amdhsa.target:   amdgcn-amd-amdhsa--gfx1030
amdhsa.version:
  - 1
  - 2
...

	.end_amdgpu_metadata
